;; amdgpu-corpus repo=ROCm/rocFFT kind=compiled arch=gfx1030 opt=O3
	.text
	.amdgcn_target "amdgcn-amd-amdhsa--gfx1030"
	.amdhsa_code_object_version 6
	.protected	fft_rtc_fwd_len1848_factors_3_11_7_4_2_wgs_231_tpt_231_halfLds_half_ip_CI_unitstride_sbrr_dirReg ; -- Begin function fft_rtc_fwd_len1848_factors_3_11_7_4_2_wgs_231_tpt_231_halfLds_half_ip_CI_unitstride_sbrr_dirReg
	.globl	fft_rtc_fwd_len1848_factors_3_11_7_4_2_wgs_231_tpt_231_halfLds_half_ip_CI_unitstride_sbrr_dirReg
	.p2align	8
	.type	fft_rtc_fwd_len1848_factors_3_11_7_4_2_wgs_231_tpt_231_halfLds_half_ip_CI_unitstride_sbrr_dirReg,@function
fft_rtc_fwd_len1848_factors_3_11_7_4_2_wgs_231_tpt_231_halfLds_half_ip_CI_unitstride_sbrr_dirReg: ; @fft_rtc_fwd_len1848_factors_3_11_7_4_2_wgs_231_tpt_231_halfLds_half_ip_CI_unitstride_sbrr_dirReg
; %bb.0:
	s_clause 0x2
	s_load_dwordx4 s[8:11], s[4:5], 0x0
	s_load_dwordx2 s[2:3], s[4:5], 0x50
	s_load_dwordx2 s[12:13], s[4:5], 0x18
	v_mul_u32_u24_e32 v1, 0x11c, v0
	v_mov_b32_e32 v3, 0
	v_add_nc_u32_sdwa v5, s6, v1 dst_sel:DWORD dst_unused:UNUSED_PAD src0_sel:DWORD src1_sel:WORD_1
	v_mov_b32_e32 v1, 0
	v_mov_b32_e32 v6, v3
	v_mov_b32_e32 v2, 0
	s_waitcnt lgkmcnt(0)
	v_cmp_lt_u64_e64 s0, s[10:11], 2
	s_and_b32 vcc_lo, exec_lo, s0
	s_cbranch_vccnz .LBB0_8
; %bb.1:
	s_load_dwordx2 s[0:1], s[4:5], 0x10
	v_mov_b32_e32 v1, 0
	s_add_u32 s6, s12, 8
	v_mov_b32_e32 v2, 0
	s_addc_u32 s7, s13, 0
	s_mov_b64 s[16:17], 1
	s_waitcnt lgkmcnt(0)
	s_add_u32 s14, s0, 8
	s_addc_u32 s15, s1, 0
.LBB0_2:                                ; =>This Inner Loop Header: Depth=1
	s_load_dwordx2 s[18:19], s[14:15], 0x0
                                        ; implicit-def: $vgpr7_vgpr8
	s_mov_b32 s0, exec_lo
	s_waitcnt lgkmcnt(0)
	v_or_b32_e32 v4, s19, v6
	v_cmpx_ne_u64_e32 0, v[3:4]
	s_xor_b32 s1, exec_lo, s0
	s_cbranch_execz .LBB0_4
; %bb.3:                                ;   in Loop: Header=BB0_2 Depth=1
	v_cvt_f32_u32_e32 v4, s18
	v_cvt_f32_u32_e32 v7, s19
	s_sub_u32 s0, 0, s18
	s_subb_u32 s20, 0, s19
	v_fmac_f32_e32 v4, 0x4f800000, v7
	v_rcp_f32_e32 v4, v4
	v_mul_f32_e32 v4, 0x5f7ffffc, v4
	v_mul_f32_e32 v7, 0x2f800000, v4
	v_trunc_f32_e32 v7, v7
	v_fmac_f32_e32 v4, 0xcf800000, v7
	v_cvt_u32_f32_e32 v7, v7
	v_cvt_u32_f32_e32 v4, v4
	v_mul_lo_u32 v8, s0, v7
	v_mul_hi_u32 v9, s0, v4
	v_mul_lo_u32 v10, s20, v4
	v_add_nc_u32_e32 v8, v9, v8
	v_mul_lo_u32 v9, s0, v4
	v_add_nc_u32_e32 v8, v8, v10
	v_mul_hi_u32 v10, v4, v9
	v_mul_lo_u32 v11, v4, v8
	v_mul_hi_u32 v12, v4, v8
	v_mul_hi_u32 v13, v7, v9
	v_mul_lo_u32 v9, v7, v9
	v_mul_hi_u32 v14, v7, v8
	v_mul_lo_u32 v8, v7, v8
	v_add_co_u32 v10, vcc_lo, v10, v11
	v_add_co_ci_u32_e32 v11, vcc_lo, 0, v12, vcc_lo
	v_add_co_u32 v9, vcc_lo, v10, v9
	v_add_co_ci_u32_e32 v9, vcc_lo, v11, v13, vcc_lo
	v_add_co_ci_u32_e32 v10, vcc_lo, 0, v14, vcc_lo
	v_add_co_u32 v8, vcc_lo, v9, v8
	v_add_co_ci_u32_e32 v9, vcc_lo, 0, v10, vcc_lo
	v_add_co_u32 v4, vcc_lo, v4, v8
	v_add_co_ci_u32_e32 v7, vcc_lo, v7, v9, vcc_lo
	v_mul_hi_u32 v8, s0, v4
	v_mul_lo_u32 v10, s20, v4
	v_mul_lo_u32 v9, s0, v7
	v_add_nc_u32_e32 v8, v8, v9
	v_mul_lo_u32 v9, s0, v4
	v_add_nc_u32_e32 v8, v8, v10
	v_mul_hi_u32 v10, v4, v9
	v_mul_lo_u32 v11, v4, v8
	v_mul_hi_u32 v12, v4, v8
	v_mul_hi_u32 v13, v7, v9
	v_mul_lo_u32 v9, v7, v9
	v_mul_hi_u32 v14, v7, v8
	v_mul_lo_u32 v8, v7, v8
	v_add_co_u32 v10, vcc_lo, v10, v11
	v_add_co_ci_u32_e32 v11, vcc_lo, 0, v12, vcc_lo
	v_add_co_u32 v9, vcc_lo, v10, v9
	v_add_co_ci_u32_e32 v9, vcc_lo, v11, v13, vcc_lo
	v_add_co_ci_u32_e32 v10, vcc_lo, 0, v14, vcc_lo
	v_add_co_u32 v8, vcc_lo, v9, v8
	v_add_co_ci_u32_e32 v9, vcc_lo, 0, v10, vcc_lo
	v_add_co_u32 v4, vcc_lo, v4, v8
	v_add_co_ci_u32_e32 v11, vcc_lo, v7, v9, vcc_lo
	v_mul_hi_u32 v13, v5, v4
	v_mad_u64_u32 v[9:10], null, v6, v4, 0
	v_mad_u64_u32 v[7:8], null, v5, v11, 0
	;; [unrolled: 1-line block ×3, first 2 shown]
	v_add_co_u32 v4, vcc_lo, v13, v7
	v_add_co_ci_u32_e32 v7, vcc_lo, 0, v8, vcc_lo
	v_add_co_u32 v4, vcc_lo, v4, v9
	v_add_co_ci_u32_e32 v4, vcc_lo, v7, v10, vcc_lo
	v_add_co_ci_u32_e32 v7, vcc_lo, 0, v12, vcc_lo
	v_add_co_u32 v4, vcc_lo, v4, v11
	v_add_co_ci_u32_e32 v9, vcc_lo, 0, v7, vcc_lo
	v_mul_lo_u32 v10, s19, v4
	v_mad_u64_u32 v[7:8], null, s18, v4, 0
	v_mul_lo_u32 v11, s18, v9
	v_sub_co_u32 v7, vcc_lo, v5, v7
	v_add3_u32 v8, v8, v11, v10
	v_sub_nc_u32_e32 v10, v6, v8
	v_subrev_co_ci_u32_e64 v10, s0, s19, v10, vcc_lo
	v_add_co_u32 v11, s0, v4, 2
	v_add_co_ci_u32_e64 v12, s0, 0, v9, s0
	v_sub_co_u32 v13, s0, v7, s18
	v_sub_co_ci_u32_e32 v8, vcc_lo, v6, v8, vcc_lo
	v_subrev_co_ci_u32_e64 v10, s0, 0, v10, s0
	v_cmp_le_u32_e32 vcc_lo, s18, v13
	v_cmp_eq_u32_e64 s0, s19, v8
	v_cndmask_b32_e64 v13, 0, -1, vcc_lo
	v_cmp_le_u32_e32 vcc_lo, s19, v10
	v_cndmask_b32_e64 v14, 0, -1, vcc_lo
	v_cmp_le_u32_e32 vcc_lo, s18, v7
	;; [unrolled: 2-line block ×3, first 2 shown]
	v_cndmask_b32_e64 v15, 0, -1, vcc_lo
	v_cmp_eq_u32_e32 vcc_lo, s19, v10
	v_cndmask_b32_e64 v7, v15, v7, s0
	v_cndmask_b32_e32 v10, v14, v13, vcc_lo
	v_add_co_u32 v13, vcc_lo, v4, 1
	v_add_co_ci_u32_e32 v14, vcc_lo, 0, v9, vcc_lo
	v_cmp_ne_u32_e32 vcc_lo, 0, v10
	v_cndmask_b32_e32 v8, v14, v12, vcc_lo
	v_cndmask_b32_e32 v10, v13, v11, vcc_lo
	v_cmp_ne_u32_e32 vcc_lo, 0, v7
	v_cndmask_b32_e32 v8, v9, v8, vcc_lo
	v_cndmask_b32_e32 v7, v4, v10, vcc_lo
.LBB0_4:                                ;   in Loop: Header=BB0_2 Depth=1
	s_andn2_saveexec_b32 s0, s1
	s_cbranch_execz .LBB0_6
; %bb.5:                                ;   in Loop: Header=BB0_2 Depth=1
	v_cvt_f32_u32_e32 v4, s18
	s_sub_i32 s1, 0, s18
	v_rcp_iflag_f32_e32 v4, v4
	v_mul_f32_e32 v4, 0x4f7ffffe, v4
	v_cvt_u32_f32_e32 v4, v4
	v_mul_lo_u32 v7, s1, v4
	v_mul_hi_u32 v7, v4, v7
	v_add_nc_u32_e32 v4, v4, v7
	v_mul_hi_u32 v4, v5, v4
	v_mul_lo_u32 v7, v4, s18
	v_add_nc_u32_e32 v8, 1, v4
	v_sub_nc_u32_e32 v7, v5, v7
	v_subrev_nc_u32_e32 v9, s18, v7
	v_cmp_le_u32_e32 vcc_lo, s18, v7
	v_cndmask_b32_e32 v7, v7, v9, vcc_lo
	v_cndmask_b32_e32 v4, v4, v8, vcc_lo
	v_cmp_le_u32_e32 vcc_lo, s18, v7
	v_add_nc_u32_e32 v8, 1, v4
	v_cndmask_b32_e32 v7, v4, v8, vcc_lo
	v_mov_b32_e32 v8, v3
.LBB0_6:                                ;   in Loop: Header=BB0_2 Depth=1
	s_or_b32 exec_lo, exec_lo, s0
	s_load_dwordx2 s[0:1], s[6:7], 0x0
	v_mul_lo_u32 v4, v8, s18
	v_mul_lo_u32 v11, v7, s19
	v_mad_u64_u32 v[9:10], null, v7, s18, 0
	s_add_u32 s16, s16, 1
	s_addc_u32 s17, s17, 0
	s_add_u32 s6, s6, 8
	s_addc_u32 s7, s7, 0
	;; [unrolled: 2-line block ×3, first 2 shown]
	v_add3_u32 v4, v10, v11, v4
	v_sub_co_u32 v5, vcc_lo, v5, v9
	v_sub_co_ci_u32_e32 v4, vcc_lo, v6, v4, vcc_lo
	s_waitcnt lgkmcnt(0)
	v_mul_lo_u32 v6, s1, v5
	v_mul_lo_u32 v4, s0, v4
	v_mad_u64_u32 v[1:2], null, s0, v5, v[1:2]
	v_cmp_ge_u64_e64 s0, s[16:17], s[10:11]
	s_and_b32 vcc_lo, exec_lo, s0
	v_add3_u32 v2, v6, v2, v4
	s_cbranch_vccnz .LBB0_9
; %bb.7:                                ;   in Loop: Header=BB0_2 Depth=1
	v_mov_b32_e32 v5, v7
	v_mov_b32_e32 v6, v8
	s_branch .LBB0_2
.LBB0_8:
	v_mov_b32_e32 v8, v6
	v_mov_b32_e32 v7, v5
.LBB0_9:
	s_lshl_b64 s[0:1], s[10:11], 3
	v_mul_hi_u32 v5, 0x11bb4a5, v0
	s_add_u32 s0, s12, s0
	s_addc_u32 s1, s13, s1
                                        ; implicit-def: $vgpr11
                                        ; implicit-def: $vgpr25
                                        ; implicit-def: $vgpr19
                                        ; implicit-def: $vgpr12
                                        ; implicit-def: $vgpr26
                                        ; implicit-def: $vgpr9
                                        ; implicit-def: $vgpr24
                                        ; implicit-def: $vgpr10
                                        ; implicit-def: $vgpr13
                                        ; implicit-def: $vgpr14
                                        ; implicit-def: $vgpr23
                                        ; implicit-def: $vgpr20
                                        ; implicit-def: $vgpr21
                                        ; implicit-def: $vgpr22
	s_load_dwordx2 s[0:1], s[0:1], 0x0
	s_load_dwordx2 s[4:5], s[4:5], 0x20
	s_waitcnt lgkmcnt(0)
	v_mul_lo_u32 v3, s0, v8
	v_mul_lo_u32 v4, s1, v7
	v_mad_u64_u32 v[1:2], null, s0, v7, v[1:2]
	v_cmp_gt_u64_e32 vcc_lo, s[4:5], v[7:8]
                                        ; implicit-def: $vgpr8
                                        ; implicit-def: $vgpr7
	v_add3_u32 v2, v4, v2, v3
	v_mul_u32_u24_e32 v3, 0xe7, v5
                                        ; implicit-def: $vgpr4
                                        ; implicit-def: $vgpr5
	v_lshlrev_b64 v[1:2], 2, v[1:2]
	v_sub_nc_u32_e32 v3, v0, v3
	s_and_saveexec_b32 s1, vcc_lo
	s_cbranch_execz .LBB0_13
; %bb.10:
	v_mov_b32_e32 v4, 0
	v_add_co_u32 v0, s0, s2, v1
	v_add_co_ci_u32_e64 v6, s0, s3, v2, s0
	v_lshlrev_b64 v[4:5], 2, v[3:4]
	s_mov_b32 s4, exec_lo
                                        ; implicit-def: $vgpr22
                                        ; implicit-def: $vgpr21
                                        ; implicit-def: $vgpr20
                                        ; implicit-def: $vgpr23
                                        ; implicit-def: $vgpr14
	v_add_co_u32 v4, s0, v0, v4
	v_add_co_ci_u32_e64 v5, s0, v6, v5, s0
	v_add_co_u32 v6, s0, 0x1000, v4
	v_add_co_ci_u32_e64 v7, s0, 0, v5, s0
	;; [unrolled: 2-line block ×3, first 2 shown]
	s_clause 0x5
	global_load_dword v11, v[4:5], off
	global_load_dword v10, v[6:7], off offset:1756
	global_load_dword v19, v[6:7], off offset:832
	;; [unrolled: 1-line block ×5, first 2 shown]
                                        ; implicit-def: $vgpr13
	v_cmpx_gt_u32_e32 0x9a, v3
	s_cbranch_execz .LBB0_12
; %bb.11:
	v_add_co_u32 v15, s0, 0x1800, v4
	v_add_co_ci_u32_e64 v16, s0, 0, v5, s0
	s_clause 0x2
	global_load_dword v14, v[4:5], off offset:1848
	global_load_dword v20, v[6:7], off offset:216
	;; [unrolled: 1-line block ×3, first 2 shown]
	s_waitcnt vmcnt(2)
	v_lshrrev_b32_e32 v13, 16, v14
	s_waitcnt vmcnt(1)
	v_lshrrev_b32_e32 v23, 16, v20
	;; [unrolled: 2-line block ×3, first 2 shown]
.LBB0_12:
	s_or_b32 exec_lo, exec_lo, s4
	s_waitcnt vmcnt(5)
	v_lshrrev_b32_e32 v4, 16, v11
	s_waitcnt vmcnt(1)
	v_lshrrev_b32_e32 v25, 16, v8
	v_lshrrev_b32_e32 v7, 16, v19
	s_waitcnt vmcnt(0)
	v_lshrrev_b32_e32 v5, 16, v12
	v_lshrrev_b32_e32 v26, 16, v9
	;; [unrolled: 1-line block ×3, first 2 shown]
.LBB0_13:
	s_or_b32 exec_lo, exec_lo, s1
	v_add_f16_e32 v0, v8, v19
	v_add_f16_e32 v6, v11, v8
	v_sub_f16_e32 v15, v25, v7
	v_add_f16_e32 v16, v9, v10
	v_add_f16_e32 v17, v12, v9
	v_fmac_f16_e32 v11, -0.5, v0
	v_add_f16_e32 v18, v20, v22
	v_add_f16_e32 v0, v6, v19
	v_fmac_f16_e32 v12, -0.5, v16
	v_sub_f16_e32 v28, v26, v24
	v_fmamk_f16 v6, v15, 0x3aee, v11
	v_fmac_f16_e32 v11, 0xbaee, v15
	v_add_f16_e32 v15, v17, v10
	v_add_f16_e32 v17, v14, v20
	v_fmac_f16_e32 v14, -0.5, v18
	v_sub_f16_e32 v29, v23, v21
	v_fmamk_f16 v16, v28, 0x3aee, v12
	v_mad_u32_u24 v27, v3, 6, 0
	v_fmac_f16_e32 v12, 0xbaee, v28
	v_add_f16_e32 v17, v17, v22
	v_fmamk_f16 v18, v29, 0x3aee, v14
	v_fmac_f16_e32 v14, 0xbaee, v29
	v_cmp_gt_u32_e64 s0, 0x9a, v3
	ds_write_b16 v27, v0
	ds_write_b16 v27, v6 offset:2
	ds_write_b16 v27, v11 offset:4
	;; [unrolled: 1-line block ×5, first 2 shown]
	s_and_saveexec_b32 s1, s0
	s_cbranch_execz .LBB0_15
; %bb.14:
	ds_write_b16 v27, v17 offset:2772
	ds_write_b16 v27, v18 offset:2774
	;; [unrolled: 1-line block ×3, first 2 shown]
.LBB0_15:
	s_or_b32 exec_lo, exec_lo, s1
	v_cmp_gt_u32_e64 s1, 0xa8, v3
	v_lshlrev_b32_e32 v29, 2, v3
	s_waitcnt lgkmcnt(0)
	s_barrier
	buffer_gl0_inv
                                        ; implicit-def: $vgpr39
                                        ; implicit-def: $vgpr38
	s_and_saveexec_b32 s4, s1
	s_cbranch_execz .LBB0_17
; %bb.16:
	v_sub_nc_u32_e32 v28, v27, v29
	ds_read_u16 v0, v28
	ds_read_u16 v6, v28 offset:336
	ds_read_u16 v11, v28 offset:672
	;; [unrolled: 1-line block ×10, first 2 shown]
.LBB0_17:
	s_or_b32 exec_lo, exec_lo, s4
	v_add_f16_e32 v28, v25, v7
	v_add_f16_e32 v25, v4, v25
	v_sub_f16_e32 v30, v8, v19
	v_add_f16_e32 v19, v26, v24
	v_add_f16_e32 v26, v5, v26
	v_fmac_f16_e32 v4, -0.5, v28
	v_add_f16_e32 v28, v23, v21
	v_add_f16_e32 v8, v25, v7
	v_fmac_f16_e32 v5, -0.5, v19
	v_sub_f16_e32 v7, v9, v10
	v_add_f16_e32 v9, v13, v23
	v_fmac_f16_e32 v13, -0.5, v28
	v_sub_f16_e32 v10, v20, v22
	v_fmamk_f16 v19, v30, 0xbaee, v4
	v_fmac_f16_e32 v4, 0x3aee, v30
	v_add_f16_e32 v32, v26, v24
	v_fmamk_f16 v28, v7, 0xbaee, v5
	v_fmac_f16_e32 v5, 0x3aee, v7
	v_add_f16_e32 v36, v9, v21
	v_fmamk_f16 v20, v10, 0xbaee, v13
	v_fmac_f16_e32 v13, 0x3aee, v10
	s_waitcnt lgkmcnt(0)
	s_barrier
	buffer_gl0_inv
	ds_write_b16 v27, v8
	ds_write_b16 v27, v19 offset:2
	ds_write_b16 v27, v4 offset:4
	;; [unrolled: 1-line block ×5, first 2 shown]
	s_and_saveexec_b32 s4, s0
	s_cbranch_execz .LBB0_19
; %bb.18:
	ds_write_b16 v27, v36 offset:2772
	ds_write_b16 v27, v20 offset:2774
	;; [unrolled: 1-line block ×3, first 2 shown]
.LBB0_19:
	s_or_b32 exec_lo, exec_lo, s4
	s_waitcnt lgkmcnt(0)
	s_barrier
	buffer_gl0_inv
                                        ; implicit-def: $vgpr40
                                        ; implicit-def: $vgpr41
	s_and_saveexec_b32 s0, s1
	s_cbranch_execz .LBB0_21
; %bb.20:
	v_sub_nc_u32_e32 v7, v27, v29
	ds_read_u16 v8, v7
	ds_read_u16 v19, v7 offset:336
	ds_read_u16 v4, v7 offset:672
	;; [unrolled: 1-line block ×10, first 2 shown]
.LBB0_21:
	s_or_b32 exec_lo, exec_lo, s0
	v_and_b32_e32 v7, 0xff, v3
	v_mov_b32_e32 v21, 10
	v_mul_lo_u16 v9, 0xab, v7
	v_lshrrev_b16 v9, 9, v9
	v_mul_lo_u16 v10, v9, 3
	v_sub_nc_u16 v10, v3, v10
	v_mul_u32_u24_sdwa v21, v10, v21 dst_sel:DWORD dst_unused:UNUSED_PAD src0_sel:BYTE_0 src1_sel:DWORD
	v_lshlrev_b32_e32 v21, 2, v21
	s_clause 0x2
	global_load_dwordx4 v[42:45], v21, s[8:9]
	global_load_dwordx4 v[46:49], v21, s[8:9] offset:16
	global_load_dwordx2 v[50:51], v21, s[8:9] offset:32
	s_waitcnt vmcnt(0) lgkmcnt(0)
	s_barrier
	buffer_gl0_inv
	v_mul_f16_sdwa v31, v6, v42 dst_sel:DWORD dst_unused:UNUSED_PAD src0_sel:DWORD src1_sel:WORD_1
	v_mul_f16_sdwa v33, v19, v42 dst_sel:DWORD dst_unused:UNUSED_PAD src0_sel:DWORD src1_sel:WORD_1
	;; [unrolled: 1-line block ×10, first 2 shown]
	v_fmac_f16_e32 v31, v19, v42
	v_fmac_f16_e32 v22, v41, v51
	v_mul_f16_sdwa v34, v4, v43 dst_sel:DWORD dst_unused:UNUSED_PAD src0_sel:DWORD src1_sel:WORD_1
	v_mul_f16_sdwa v35, v32, v44 dst_sel:DWORD dst_unused:UNUSED_PAD src0_sel:DWORD src1_sel:WORD_1
	;; [unrolled: 1-line block ×6, first 2 shown]
	v_fma_f16 v33, v6, v42, -v33
	v_fmac_f16_e32 v30, v4, v43
	v_fmac_f16_e32 v29, v32, v44
	v_fma_f16 v32, v16, v45, -v37
	v_fma_f16 v37, v14, v49, -v55
	v_fma_f16 v38, v38, v51, -v57
	v_fmac_f16_e32 v21, v40, v50
	v_fmac_f16_e32 v23, v13, v49
	v_sub_f16_e32 v49, v31, v22
	v_mul_f16_sdwa v27, v16, v45 dst_sel:DWORD dst_unused:UNUSED_PAD src0_sel:DWORD src1_sel:WORD_1
	v_mul_f16_sdwa v26, v12, v46 dst_sel:DWORD dst_unused:UNUSED_PAD src0_sel:DWORD src1_sel:WORD_1
	;; [unrolled: 1-line block ×3, first 2 shown]
	v_fma_f16 v34, v11, v43, -v34
	v_fma_f16 v35, v15, v44, -v35
	v_fmac_f16_e32 v25, v36, v47
	v_fma_f16 v36, v18, v48, -v54
	v_fmac_f16_e32 v24, v20, v48
	v_fma_f16 v39, v39, v50, -v56
	v_add_f16_e32 v41, v33, v38
	v_sub_f16_e32 v48, v30, v21
	v_pk_mul_f16 v15, 0xb853bb47, v49 op_sel_hi:[1,0]
	v_pk_mul_f16 v43, 0xbbebba0c, v49 op_sel_hi:[1,0]
	v_mul_f16_sdwa v52, v5, v46 dst_sel:DWORD dst_unused:UNUSED_PAD src0_sel:DWORD src1_sel:WORD_1
	v_fmac_f16_e32 v27, v28, v45
	v_fmac_f16_e32 v26, v5, v46
	v_fma_f16 v28, v17, v47, -v53
	v_add_f16_e32 v40, v34, v39
	v_sub_f16_e32 v47, v29, v23
	v_pk_mul_f16 v14, 0xbb47ba0c, v48 op_sel_hi:[1,0]
	v_pk_mul_f16 v44, 0x34823beb, v48 op_sel_hi:[1,0]
	v_pk_fma_f16 v4, 0x3abb36a6, v41, v15 op_sel_hi:[1,0,1]
	v_pk_fma_f16 v5, 0xb08eb93d, v41, v43 op_sel_hi:[1,0,1]
	v_fma_f16 v6, v12, v46, -v52
	v_add_f16_e32 v18, v35, v37
	v_sub_f16_e32 v46, v27, v24
	v_pk_mul_f16 v12, 0xbbeb3482, v47 op_sel_hi:[1,0]
	v_pk_mul_f16 v42, 0x3b47b853, v47 op_sel_hi:[1,0]
	v_pk_fma_f16 v17, 0x36a6b93d, v40, v14 op_sel_hi:[1,0,1]
	v_pk_fma_f16 v50, 0xbbadb08e, v40, v44 op_sel_hi:[1,0,1]
	v_pk_add_f16 v4, v0, v4 op_sel_hi:[0,1]
	v_pk_add_f16 v5, v0, v5 op_sel_hi:[0,1]
	v_add_f16_e32 v19, v32, v36
	v_sub_f16_e32 v45, v26, v25
	v_pk_mul_f16 v13, 0xba0c3beb, v46 op_sel_hi:[1,0]
	v_pk_mul_f16 v20, 0xb853b482, v46 op_sel_hi:[1,0]
	v_pk_fma_f16 v51, 0xb08ebbad, v18, v12 op_sel_hi:[1,0,1]
	v_pk_fma_f16 v52, 0x36a63abb, v18, v42 op_sel_hi:[1,0,1]
	v_pk_add_f16 v4, v17, v4
	v_pk_add_f16 v5, v50, v5
	v_add_f16_e32 v16, v6, v28
	v_pk_mul_f16 v11, 0xb4823853, v45 op_sel_hi:[1,0]
	v_pk_mul_f16 v17, 0xba0c3b47, v45 op_sel_hi:[1,0]
	v_pk_fma_f16 v50, 0xb93db08e, v19, v13 op_sel_hi:[1,0,1]
	v_pk_fma_f16 v53, 0x3abbbbad, v19, v20 op_sel_hi:[1,0,1]
	v_pk_add_f16 v4, v51, v4
	v_pk_add_f16 v5, v52, v5
	v_pk_fma_f16 v51, 0xbbad3abb, v16, v11 op_sel_hi:[1,0,1]
	v_pk_fma_f16 v52, 0xb93d36a6, v16, v17 op_sel_hi:[1,0,1]
	v_pk_add_f16 v4, v50, v4
	v_pk_add_f16 v50, v53, v5
	;; [unrolled: 1-line block ×4, first 2 shown]
	s_and_saveexec_b32 s0, s1
	s_cbranch_execz .LBB0_23
; %bb.22:
	v_add_f16_e32 v50, v0, v33
	v_mul_f16_e32 v49, 0xb482, v49
	v_pk_mul_f16 v51, 0x3abb36a6, v41 op_sel_hi:[1,0]
	v_pk_mul_f16 v56, 0xb08eb93d, v41 op_sel_hi:[1,0]
	v_mul_f16_e32 v48, 0x3853, v48
	v_add_f16_e32 v50, v50, v34
	v_fmamk_f16 v61, v41, 0xbbad, v49
	v_fma_f16 v41, v41, 0xbbad, -v49
	v_pk_mul_f16 v52, 0x36a6b93d, v40 op_sel_hi:[1,0]
	v_pk_mul_f16 v57, 0xbbadb08e, v40 op_sel_hi:[1,0]
	v_add_f16_e32 v50, v50, v35
	v_mul_f16_e32 v47, 0xba0c, v47
	v_fmamk_f16 v62, v40, 0x3abb, v48
	v_fma_f16 v40, v40, 0x3abb, -v48
	v_add_f16_e32 v41, v0, v41
	v_add_f16_e32 v50, v50, v32
	v_pk_mul_f16 v53, 0xb08ebbad, v18 op_sel_hi:[1,0]
	v_pk_mul_f16 v58, 0x36a63abb, v18 op_sel_hi:[1,0]
	v_mul_f16_e32 v46, 0x3b47, v46
	v_fmamk_f16 v63, v18, 0xb93d, v47
	v_add_f16_e32 v50, v50, v6
	v_fma_f16 v18, v18, 0xb93d, -v47
	v_add_f16_e32 v40, v40, v41
	v_pk_add_f16 v43, v56, v43 neg_lo:[0,1] neg_hi:[0,1]
	v_pk_mul_f16 v54, 0xb93db08e, v19 op_sel_hi:[1,0]
	v_add_f16_e32 v49, v50, v28
	v_pk_mul_f16 v59, 0x3abbbbad, v19 op_sel_hi:[1,0]
	v_mul_f16_e32 v45, 0xbbeb, v45
	v_fmamk_f16 v64, v19, 0x36a6, v46
	v_fma_f16 v19, v19, 0x36a6, -v46
	v_add_f16_e32 v49, v49, v36
	v_pk_add_f16 v44, v57, v44 neg_lo:[0,1] neg_hi:[0,1]
	v_add_f16_e32 v18, v18, v40
	v_pk_mul_f16 v55, 0xbbad3abb, v16 op_sel_hi:[1,0]
	v_pk_mul_f16 v60, 0xb93d36a6, v16 op_sel_hi:[1,0]
	v_add_f16_e32 v41, v49, v37
	v_fmamk_f16 v50, v16, 0xb08e, v45
	v_fma_f16 v16, v16, 0xb08e, -v45
	v_add_f16_e32 v18, v19, v18
	v_pk_add_f16 v15, v51, v15 neg_lo:[0,1] neg_hi:[0,1]
	v_add_f16_e32 v40, v41, v39
	v_add_f16_e32 v41, v0, v43
	v_add_f16_sdwa v43, v0, v43 dst_sel:DWORD dst_unused:UNUSED_PAD src0_sel:DWORD src1_sel:WORD_1
	v_add_f16_e32 v16, v16, v18
	v_pk_add_f16 v14, v52, v14 neg_lo:[0,1] neg_hi:[0,1]
	v_add_f16_e32 v19, v40, v38
	v_add_f16_e32 v40, v44, v41
	v_pk_add_f16 v41, v58, v42 neg_lo:[0,1] neg_hi:[0,1]
	v_add_f16_e32 v48, v0, v61
	v_pk_add_f16 v12, v53, v12 neg_lo:[0,1] neg_hi:[0,1]
	v_pk_add_f16 v13, v54, v13 neg_lo:[0,1] neg_hi:[0,1]
	;; [unrolled: 1-line block ×3, first 2 shown]
	v_add_f16_e32 v18, v41, v40
	v_add_f16_sdwa v40, v44, v43 dst_sel:DWORD dst_unused:UNUSED_PAD src0_sel:WORD_1 src1_sel:DWORD
	v_add_f16_sdwa v43, v0, v15 dst_sel:DWORD dst_unused:UNUSED_PAD src0_sel:DWORD src1_sel:WORD_1
	v_add_f16_e32 v0, v0, v15
	v_pk_add_f16 v15, v60, v17 neg_lo:[0,1] neg_hi:[0,1]
	v_add_f16_e32 v46, v62, v48
	v_add_f16_sdwa v17, v41, v40 dst_sel:DWORD dst_unused:UNUSED_PAD src0_sel:WORD_1 src1_sel:DWORD
	v_add_f16_sdwa v40, v14, v43 dst_sel:DWORD dst_unused:UNUSED_PAD src0_sel:WORD_1 src1_sel:DWORD
	v_add_f16_e32 v0, v14, v0
	v_mov_b32_e32 v14, 0x42
	v_mov_b32_e32 v41, 1
	v_add_f16_e32 v46, v63, v46
	v_add_f16_sdwa v40, v12, v40 dst_sel:DWORD dst_unused:UNUSED_PAD src0_sel:WORD_1 src1_sel:DWORD
	v_add_f16_e32 v0, v12, v0
	v_mul_u32_u24_sdwa v12, v9, v14 dst_sel:DWORD dst_unused:UNUSED_PAD src0_sel:WORD_0 src1_sel:DWORD
	v_lshlrev_b32_sdwa v14, v41, v10 dst_sel:DWORD dst_unused:UNUSED_PAD src0_sel:DWORD src1_sel:BYTE_0
	v_pk_add_f16 v11, v55, v11 neg_lo:[0,1] neg_hi:[0,1]
	v_add_f16_sdwa v40, v13, v40 dst_sel:DWORD dst_unused:UNUSED_PAD src0_sel:WORD_1 src1_sel:DWORD
	v_add_f16_e32 v0, v13, v0
	v_add_f16_sdwa v13, v20, v17 dst_sel:DWORD dst_unused:UNUSED_PAD src0_sel:WORD_1 src1_sel:DWORD
	v_add_f16_e32 v17, v20, v18
	v_add_f16_e32 v45, v64, v46
	v_add3_u32 v12, 0, v12, v14
	v_add_f16_sdwa v14, v11, v40 dst_sel:DWORD dst_unused:UNUSED_PAD src0_sel:WORD_1 src1_sel:DWORD
	v_add_f16_e32 v0, v11, v0
	v_add_f16_sdwa v11, v15, v13 dst_sel:DWORD dst_unused:UNUSED_PAD src0_sel:WORD_1 src1_sel:DWORD
	v_add_f16_e32 v13, v15, v17
	v_add_f16_e32 v42, v50, v45
	ds_write_b16 v12, v19
	ds_write_b16 v12, v14 offset:6
	ds_write_b16 v12, v0 offset:12
	ds_write_b16 v12, v11 offset:18
	ds_write_b16 v12, v13 offset:24
	ds_write_b16 v12, v16 offset:30
	ds_write_b16 v12, v42 offset:36
	ds_write_b16 v12, v4 offset:42
	ds_write_b16_d16_hi v12, v4 offset:48
	ds_write_b16 v12, v5 offset:54
	ds_write_b16_d16_hi v12, v5 offset:60
.LBB0_23:
	s_or_b32 exec_lo, exec_lo, s0
	v_lshl_add_u32 v0, v3, 1, 0
	s_waitcnt lgkmcnt(0)
	s_barrier
	buffer_gl0_inv
	v_cmp_gt_u32_e64 s0, 33, v3
	ds_read_u16 v11, v0
	ds_read_u16 v20, v0 offset:528
	ds_read_u16 v19, v0 offset:1056
	;; [unrolled: 1-line block ×6, first 2 shown]
                                        ; implicit-def: $vgpr13
                                        ; implicit-def: $vgpr12
                                        ; implicit-def: $vgpr14
	s_and_saveexec_b32 s4, s0
	s_cbranch_execz .LBB0_25
; %bb.24:
	ds_read_u16 v4, v0 offset:462
	ds_read_u16 v5, v0 offset:1518
	;; [unrolled: 1-line block ×4, first 2 shown]
	s_waitcnt lgkmcnt(3)
	ds_read_u16_d16_hi v4, v0 offset:990
	s_waitcnt lgkmcnt(3)
	ds_read_u16_d16_hi v5, v0 offset:2046
	ds_read_u16 v14, v0 offset:3102
.LBB0_25:
	s_or_b32 exec_lo, exec_lo, s4
	v_sub_f16_e32 v51, v33, v38
	v_add_f16_e32 v43, v31, v22
	v_sub_f16_e32 v48, v34, v39
	v_add_f16_e32 v40, v30, v21
	v_sub_f16_e32 v46, v35, v37
	v_pk_mul_f16 v41, 0xbbebb853, v51 op_sel_hi:[1,0]
	v_pk_mul_f16 v42, 0xbb47ba0c, v51 op_sel_hi:[1,0]
	v_sub_f16_e32 v47, v32, v36
	v_pk_mul_f16 v49, 0x3482bb47, v48 op_sel_hi:[1,0]
	v_sub_f16_e32 v33, v6, v28
	v_pk_fma_f16 v35, 0xb08e3abb, v43, v41 op_sel_hi:[1,0,1] neg_lo:[0,0,1] neg_hi:[0,0,1]
	v_pk_fma_f16 v6, 0x36a6b93d, v43, v42 op_sel_hi:[1,0,1] neg_lo:[0,0,1] neg_hi:[0,0,1]
	v_pk_mul_f16 v36, 0xba0c3beb, v48 op_sel_hi:[1,0]
	v_add_f16_e32 v39, v29, v23
	v_pk_mul_f16 v50, 0x3b47bbeb, v46 op_sel_hi:[1,0]
	v_pk_add_f16 v28, v8, v35 op_sel_hi:[0,1]
	v_pk_fma_f16 v35, 0xbbad36a6, v40, v49 op_sel_hi:[1,0,1] neg_lo:[0,0,1] neg_hi:[0,0,1]
	v_pk_add_f16 v6, v8, v6 op_sel_hi:[0,1]
	v_pk_fma_f16 v38, 0xb93db08e, v40, v36 op_sel_hi:[1,0,1] neg_lo:[0,0,1] neg_hi:[0,0,1]
	v_pk_mul_f16 v37, 0x3482b853, v46 op_sel_hi:[1,0]
	v_add_f16_e32 v34, v27, v24
	v_pk_add_f16 v28, v35, v28
	v_pk_fma_f16 v35, 0x36a6b08e, v39, v50 op_sel_hi:[1,0,1] neg_lo:[0,0,1] neg_hi:[0,0,1]
	v_pk_mul_f16 v44, 0xb853ba0c, v47 op_sel_hi:[1,0]
	v_pk_add_f16 v6, v38, v6
	v_pk_fma_f16 v52, 0xbbad3abb, v39, v37 op_sel_hi:[1,0,1] neg_lo:[0,0,1] neg_hi:[0,0,1]
	v_pk_mul_f16 v38, 0x3bebb482, v47 op_sel_hi:[1,0]
	v_add_f16_e32 v32, v26, v25
	v_pk_add_f16 v28, v35, v28
	v_pk_fma_f16 v53, 0x3abbb93d, v34, v44 op_sel_hi:[1,0,1] neg_lo:[0,0,1] neg_hi:[0,0,1]
	v_pk_mul_f16 v45, 0xba0cb482, v33 op_sel_hi:[1,0]
	v_pk_add_f16 v6, v52, v6
	v_pk_fma_f16 v52, 0xb08ebbad, v34, v38 op_sel_hi:[1,0,1] neg_lo:[0,0,1] neg_hi:[0,0,1]
	v_pk_mul_f16 v35, 0x38533b47, v33 op_sel_hi:[1,0]
	v_pk_add_f16 v28, v53, v28
	v_pk_fma_f16 v53, 0xb93dbbad, v32, v45 op_sel_hi:[1,0,1] neg_lo:[0,0,1] neg_hi:[0,0,1]
	s_waitcnt lgkmcnt(0)
	v_pk_add_f16 v6, v52, v6
	v_pk_fma_f16 v52, 0x3abb36a6, v32, v35 op_sel_hi:[1,0,1] neg_lo:[0,0,1] neg_hi:[0,0,1]
	s_barrier
	v_pk_add_f16 v28, v53, v28
	buffer_gl0_inv
	v_pk_add_f16 v6, v52, v6
	s_and_saveexec_b32 s4, s1
	s_cbranch_execz .LBB0_27
; %bb.26:
	v_add_f16_e32 v31, v8, v31
	v_mul_f16_e32 v51, 0xb482, v51
	v_pk_mul_f16 v52, 0xb08e3abb, v43 op_sel_hi:[1,0]
	v_mul_f16_e32 v48, 0x3853, v48
	v_pk_mul_f16 v53, 0xbbad36a6, v40 op_sel_hi:[1,0]
	v_add_f16_e32 v30, v31, v30
	v_pk_mul_f16 v54, 0x36a6b08e, v39 op_sel_hi:[1,0]
	v_pk_mul_f16 v57, 0xb93db08e, v40 op_sel_hi:[1,0]
	v_pk_mul_f16 v58, 0xbbad3abb, v39 op_sel_hi:[1,0]
	v_pk_mul_f16 v56, 0x36a6b93d, v43 op_sel_hi:[1,0]
	v_add_f16_e32 v29, v30, v29
	v_pk_mul_f16 v55, 0x3abbb93d, v34 op_sel_hi:[1,0]
	v_pk_mul_f16 v31, 0xb93dbbad, v32 op_sel_hi:[1,0]
	;; [unrolled: 1-line block ×3, first 2 shown]
	v_pk_add_f16 v42, v42, v56
	v_add_f16_e32 v27, v29, v27
	v_mul_f16_e32 v29, 0xba0c, v46
	v_mul_f16_e32 v46, 0x3b47, v47
	v_fmamk_f16 v47, v43, 0xbbad, v51
	v_fma_f16 v43, v43, 0xbbad, -v51
	v_add_f16_e32 v26, v27, v26
	v_fmamk_f16 v27, v40, 0x3abb, v48
	v_fma_f16 v40, v40, 0x3abb, -v48
	v_fmamk_f16 v48, v39, 0xb93d, v29
	v_fma_f16 v29, v39, 0xb93d, -v29
	v_add_f16_e32 v25, v26, v25
	v_pk_add_f16 v39, v41, v52
	v_add_f16_e32 v47, v8, v47
	v_pk_add_f16 v41, v49, v53
	v_add_f16_e32 v43, v8, v43
	v_add_f16_e32 v24, v25, v24
	v_pk_add_f16 v25, v50, v54
	v_add_f16_e32 v27, v27, v47
	v_fmamk_f16 v26, v34, 0x36a6, v46
	v_add_f16_e32 v40, v40, v43
	v_add_f16_e32 v23, v24, v23
	;; [unrolled: 1-line block ×3, first 2 shown]
	v_add_f16_sdwa v39, v8, v39 dst_sel:DWORD dst_unused:UNUSED_PAD src0_sel:DWORD src1_sel:WORD_1
	v_add_f16_e32 v27, v48, v27
	v_pk_add_f16 v36, v36, v57
	v_add_f16_e32 v21, v23, v21
	v_add_f16_e32 v23, v41, v24
	v_add_f16_sdwa v24, v41, v39 dst_sel:DWORD dst_unused:UNUSED_PAD src0_sel:WORD_1 src1_sel:DWORD
	v_add_f16_e32 v26, v26, v27
	v_fma_f16 v27, v34, 0x36a6, -v46
	v_add_f16_e32 v21, v21, v22
	v_add_f16_e32 v22, v25, v23
	v_pk_add_f16 v23, v44, v55
	v_add_f16_sdwa v24, v25, v24 dst_sel:DWORD dst_unused:UNUSED_PAD src0_sel:WORD_1 src1_sel:DWORD
	v_add_f16_sdwa v34, v8, v42 dst_sel:DWORD dst_unused:UNUSED_PAD src0_sel:DWORD src1_sel:WORD_1
	v_add_f16_e32 v8, v8, v42
	v_add_f16_e32 v29, v29, v40
	;; [unrolled: 1-line block ×3, first 2 shown]
	v_pk_add_f16 v25, v45, v31
	v_add_f16_sdwa v23, v23, v24 dst_sel:DWORD dst_unused:UNUSED_PAD src0_sel:WORD_1 src1_sel:DWORD
	v_add_f16_sdwa v31, v36, v34 dst_sel:DWORD dst_unused:UNUSED_PAD src0_sel:WORD_1 src1_sel:DWORD
	v_pk_add_f16 v34, v37, v58
	v_add_f16_e32 v8, v36, v8
	v_add_f16_e32 v27, v27, v29
	;; [unrolled: 1-line block ×3, first 2 shown]
	v_pk_add_f16 v29, v38, v30
	v_add_f16_sdwa v23, v25, v23 dst_sel:DWORD dst_unused:UNUSED_PAD src0_sel:WORD_1 src1_sel:DWORD
	v_mov_b32_e32 v25, 0x42
	v_mov_b32_e32 v30, 1
	v_pk_mul_f16 v59, 0x3abb36a6, v32 op_sel_hi:[1,0]
	v_add_f16_sdwa v24, v34, v31 dst_sel:DWORD dst_unused:UNUSED_PAD src0_sel:WORD_1 src1_sel:DWORD
	v_add_f16_e32 v8, v34, v8
	v_mul_f16_e32 v31, 0xbbeb, v33
	v_mul_u32_u24_sdwa v9, v9, v25 dst_sel:DWORD dst_unused:UNUSED_PAD src0_sel:WORD_0 src1_sel:DWORD
	v_lshlrev_b32_sdwa v10, v30, v10 dst_sel:DWORD dst_unused:UNUSED_PAD src0_sel:DWORD src1_sel:BYTE_0
	v_add_f16_sdwa v24, v29, v24 dst_sel:DWORD dst_unused:UNUSED_PAD src0_sel:WORD_1 src1_sel:DWORD
	v_pk_add_f16 v25, v35, v59
	v_add_f16_e32 v8, v29, v8
	v_fmamk_f16 v29, v32, 0xb08e, v31
	v_fma_f16 v30, v32, 0xb08e, -v31
	v_add3_u32 v9, 0, v9, v10
	v_add_f16_sdwa v10, v25, v24 dst_sel:DWORD dst_unused:UNUSED_PAD src0_sel:WORD_1 src1_sel:DWORD
	v_add_f16_e32 v8, v25, v8
	v_add_f16_e32 v24, v29, v26
	;; [unrolled: 1-line block ×3, first 2 shown]
	ds_write_b16 v9, v21
	ds_write_b16 v9, v22 offset:6
	ds_write_b16 v9, v10 offset:12
	;; [unrolled: 1-line block ×7, first 2 shown]
	ds_write_b16_d16_hi v9, v28 offset:48
	ds_write_b16_d16_hi v9, v6 offset:54
	ds_write_b16 v9, v28 offset:60
.LBB0_27:
	s_or_b32 exec_lo, exec_lo, s4
	s_waitcnt lgkmcnt(0)
	s_barrier
	buffer_gl0_inv
	ds_read_u16 v8, v0
	ds_read_u16 v29, v0 offset:528
	ds_read_u16 v27, v0 offset:1056
	;; [unrolled: 1-line block ×6, first 2 shown]
                                        ; implicit-def: $vgpr21
                                        ; implicit-def: $vgpr10
                                        ; implicit-def: $vgpr22
	s_and_saveexec_b32 s1, s0
	s_cbranch_execz .LBB0_29
; %bb.28:
	ds_read_u16 v28, v0 offset:2046
	ds_read_u16 v6, v0 offset:462
	;; [unrolled: 1-line block ×3, first 2 shown]
	s_waitcnt lgkmcnt(2)
	ds_read_u16_d16_hi v28, v0 offset:990
	ds_read_u16 v21, v0 offset:2574
	s_waitcnt lgkmcnt(3)
	ds_read_u16_d16_hi v6, v0 offset:1518
	ds_read_u16 v22, v0 offset:3102
.LBB0_29:
	s_or_b32 exec_lo, exec_lo, s1
	v_mul_lo_u16 v7, 0xf9, v7
	v_add_nc_u32_e32 v30, 0xe7, v3
	v_mov_b32_e32 v32, 0xf83f
	v_mov_b32_e32 v31, 6
	v_lshrrev_b32_e32 v52, 16, v5
	v_lshrrev_b16 v7, 13, v7
	s_waitcnt lgkmcnt(1)
	v_lshrrev_b32_e32 v51, 16, v6
	v_mul_u32_u24_sdwa v32, v30, v32 dst_sel:DWORD dst_unused:UNUSED_PAD src0_sel:WORD_0 src1_sel:DWORD
	v_lshrrev_b32_e32 v49, 16, v4
	v_lshrrev_b32_e32 v50, 16, v28
	v_mul_lo_u16 v9, v7, 33
	v_lshrrev_b32_e32 v32, 21, v32
	v_sub_nc_u16 v9, v3, v9
	v_mul_lo_u16 v32, v32, 33
	v_mul_u32_u24_sdwa v31, v9, v31 dst_sel:DWORD dst_unused:UNUSED_PAD src0_sel:BYTE_0 src1_sel:DWORD
	v_sub_nc_u16 v30, v30, v32
	v_mov_b32_e32 v32, 1
	v_lshlrev_b32_e32 v31, 2, v31
	v_and_b32_e32 v30, 0xffff, v30
	v_lshlrev_b32_sdwa v9, v32, v9 dst_sel:DWORD dst_unused:UNUSED_PAD src0_sel:DWORD src1_sel:BYTE_0
	s_clause 0x1
	global_load_dwordx4 v[37:40], v31, s[8:9] offset:120
	global_load_dwordx2 v[45:46], v31, s[8:9] offset:136
	v_mul_u32_u24_e32 v31, 6, v30
	v_lshlrev_b32_e32 v31, 2, v31
	s_clause 0x1
	global_load_dwordx4 v[41:44], v31, s[8:9] offset:120
	global_load_dwordx2 v[47:48], v31, s[8:9] offset:136
	v_mov_b32_e32 v31, 0x1ce
	s_waitcnt vmcnt(0) lgkmcnt(0)
	s_barrier
	buffer_gl0_inv
	v_mul_u32_u24_sdwa v7, v7, v31 dst_sel:DWORD dst_unused:UNUSED_PAD src0_sel:WORD_0 src1_sel:DWORD
	v_add3_u32 v9, 0, v7, v9
	v_lshl_add_u32 v7, v30, 1, 0
	v_mul_f16_sdwa v35, v29, v37 dst_sel:DWORD dst_unused:UNUSED_PAD src0_sel:DWORD src1_sel:WORD_1
	v_mul_f16_sdwa v31, v20, v37 dst_sel:DWORD dst_unused:UNUSED_PAD src0_sel:DWORD src1_sel:WORD_1
	;; [unrolled: 1-line block ×12, first 2 shown]
	v_fma_f16 v35, v20, v37, -v35
	v_fmac_f16_e32 v31, v29, v37
	v_fma_f16 v29, v19, v38, -v53
	v_fmac_f16_e32 v33, v25, v40
	v_fma_f16 v25, v16, v45, -v56
	v_fma_f16 v37, v15, v46, -v57
	v_fmac_f16_e32 v32, v27, v38
	v_fma_f16 v27, v18, v39, -v54
	v_fmac_f16_e32 v30, v26, v39
	;; [unrolled: 2-line block ×3, first 2 shown]
	v_fmac_f16_e32 v36, v23, v46
	v_mul_f16_sdwa v18, v13, v44 dst_sel:DWORD dst_unused:UNUSED_PAD src0_sel:DWORD src1_sel:WORD_1
	v_add_f16_e32 v46, v35, v37
	v_add_f16_e32 v54, v29, v25
	v_mul_f16_sdwa v15, v52, v43 dst_sel:DWORD dst_unused:UNUSED_PAD src0_sel:DWORD src1_sel:WORD_1
	v_mul_f16_sdwa v39, v21, v44 dst_sel:DWORD dst_unused:UNUSED_PAD src0_sel:DWORD src1_sel:WORD_1
	;; [unrolled: 1-line block ×3, first 2 shown]
	v_sub_f16_e32 v55, v32, v34
	v_add_f16_e32 v56, v27, v26
	v_sub_f16_e32 v57, v33, v30
	v_fmac_f16_e32 v18, v21, v44
	v_add_f16_e32 v21, v54, v46
	v_mul_f16_sdwa v24, v51, v42 dst_sel:DWORD dst_unused:UNUSED_PAD src0_sel:DWORD src1_sel:WORD_1
	v_mul_f16_sdwa v17, v5, v42 dst_sel:DWORD dst_unused:UNUSED_PAD src0_sel:DWORD src1_sel:WORD_1
	;; [unrolled: 1-line block ×3, first 2 shown]
	v_sub_f16_e32 v53, v31, v36
	v_mul_f16_sdwa v23, v50, v41 dst_sel:DWORD dst_unused:UNUSED_PAD src0_sel:DWORD src1_sel:WORD_1
	v_mul_f16_sdwa v16, v49, v41 dst_sel:DWORD dst_unused:UNUSED_PAD src0_sel:DWORD src1_sel:WORD_1
	;; [unrolled: 1-line block ×3, first 2 shown]
	v_fmac_f16_e32 v15, v28, v43
	v_fma_f16 v14, v14, v47, -v40
	v_sub_f16_e32 v28, v46, v56
	v_sub_f16_e32 v40, v57, v55
	v_add_f16_e32 v21, v56, v21
	v_fma_f16 v5, v5, v42, -v24
	v_fmac_f16_e32 v17, v51, v42
	v_fma_f16 v24, v52, v43, -v38
	v_sub_f16_e32 v38, v56, v54
	v_sub_f16_e32 v42, v55, v53
	v_mul_f16_sdwa v45, v10, v48 dst_sel:DWORD dst_unused:UNUSED_PAD src0_sel:DWORD src1_sel:WORD_1
	v_fma_f16 v23, v49, v41, -v23
	v_fmac_f16_e32 v16, v50, v41
	v_fma_f16 v13, v13, v44, -v39
	v_add_f16_e32 v39, v57, v55
	v_sub_f16_e32 v41, v53, v57
	v_mul_f16_e32 v28, 0x3a52, v28
	v_mul_f16_e32 v40, 0xb846, v40
	v_add_f16_e32 v11, v11, v21
	v_fmac_f16_e32 v19, v22, v47
	v_sub_f16_e32 v22, v54, v46
	v_mul_f16_e32 v43, 0x2b26, v38
	v_mul_f16_e32 v44, 0x3b00, v42
	v_mul_f16_sdwa v20, v12, v48 dst_sel:DWORD dst_unused:UNUSED_PAD src0_sel:DWORD src1_sel:WORD_1
	v_fma_f16 v12, v12, v48, -v45
	v_add_f16_e32 v39, v39, v53
	v_fmamk_f16 v38, v38, 0x2b26, v28
	v_fmamk_f16 v45, v41, 0x3574, v40
	;; [unrolled: 1-line block ×3, first 2 shown]
	v_fma_f16 v43, v22, 0x39e0, -v43
	v_fma_f16 v41, v41, 0xb574, -v44
	;; [unrolled: 1-line block ×4, first 2 shown]
	v_fmac_f16_e32 v45, 0x370e, v39
	v_add_f16_e32 v28, v38, v21
	v_fmac_f16_e32 v41, 0x370e, v39
	v_add_f16_e32 v22, v22, v21
	;; [unrolled: 2-line block ×4, first 2 shown]
	ds_write_b16 v9, v11
	v_add_f16_e32 v11, v41, v22
	v_sub_f16_e32 v38, v21, v40
	v_add_f16_e32 v21, v40, v21
	v_sub_f16_e32 v22, v22, v41
	v_sub_f16_e32 v28, v28, v45
	ds_write_b16 v9, v10 offset:66
	ds_write_b16 v9, v11 offset:132
	ds_write_b16 v9, v38 offset:198
	ds_write_b16 v9, v21 offset:264
	ds_write_b16 v9, v22 offset:330
	ds_write_b16 v9, v28 offset:396
	s_and_saveexec_b32 s1, s0
	s_cbranch_execz .LBB0_31
; %bb.30:
	v_add_f16_e32 v10, v23, v12
	v_add_f16_e32 v11, v5, v14
	;; [unrolled: 1-line block ×3, first 2 shown]
	v_sub_f16_e32 v28, v18, v15
	v_sub_f16_e32 v39, v17, v19
	;; [unrolled: 1-line block ×3, first 2 shown]
	v_add_f16_e32 v38, v11, v10
	v_sub_f16_e32 v40, v10, v21
	v_sub_f16_e32 v41, v21, v11
	;; [unrolled: 1-line block ×4, first 2 shown]
	v_add_f16_e32 v21, v21, v38
	v_sub_f16_e32 v38, v28, v39
	v_add_f16_e32 v28, v28, v39
	v_sub_f16_e32 v39, v39, v22
	v_mul_f16_e32 v11, 0x3a52, v40
	v_add_f16_e32 v4, v4, v21
	v_mul_f16_e32 v38, 0xb846, v38
	v_add_f16_e32 v22, v28, v22
	v_mul_f16_e32 v40, 0x3b00, v39
	v_fmamk_f16 v28, v41, 0x2b26, v11
	v_mul_f16_e32 v41, 0x2b26, v41
	v_fmamk_f16 v21, v21, 0xbcab, v4
	v_fmamk_f16 v43, v42, 0x3574, v38
	v_fma_f16 v11, v10, 0xb9e0, -v11
	v_fma_f16 v40, v42, 0xb574, -v40
	v_fma_f16 v38, v39, 0x3b00, -v38
	v_fma_f16 v10, v10, 0x39e0, -v41
	v_add_f16_e32 v28, v28, v21
	v_fmac_f16_e32 v43, 0x370e, v22
	v_add_f16_e32 v11, v11, v21
	v_fmac_f16_e32 v40, 0x370e, v22
	v_fmac_f16_e32 v38, 0x370e, v22
	v_add_f16_e32 v10, v10, v21
	v_sub_f16_e32 v21, v28, v43
	v_add_f16_e32 v28, v43, v28
	v_sub_f16_e32 v22, v11, v40
	;; [unrolled: 2-line block ×3, first 2 shown]
	v_add_f16_e32 v10, v38, v10
	ds_write_b16 v7, v4 offset:3234
	ds_write_b16 v7, v28 offset:3300
	;; [unrolled: 1-line block ×7, first 2 shown]
.LBB0_31:
	s_or_b32 exec_lo, exec_lo, s1
	v_add_f16_e32 v4, v31, v36
	v_add_f16_e32 v10, v32, v34
	v_add_f16_e32 v21, v30, v33
	v_sub_f16_e32 v22, v29, v25
	v_sub_f16_e32 v25, v26, v27
	;; [unrolled: 1-line block ×3, first 2 shown]
	v_add_f16_e32 v26, v10, v4
	v_sub_f16_e32 v27, v10, v4
	v_sub_f16_e32 v4, v4, v21
	;; [unrolled: 1-line block ×3, first 2 shown]
	v_add_f16_e32 v28, v25, v22
	v_add_f16_e32 v21, v21, v26
	v_sub_f16_e32 v26, v25, v22
	v_sub_f16_e32 v22, v22, v11
	v_mul_f16_e32 v4, 0x3a52, v4
	v_sub_f16_e32 v25, v11, v25
	v_add_f16_e32 v29, v8, v21
	v_mul_f16_e32 v8, 0x2b26, v10
	v_add_f16_e32 v28, v28, v11
	v_mul_f16_e32 v11, 0xb846, v26
	v_mul_f16_e32 v26, 0x3b00, v22
	v_fmamk_f16 v21, v21, 0xbcab, v29
	v_fmamk_f16 v10, v10, 0x2b26, v4
	v_fma_f16 v8, v27, 0x39e0, -v8
	v_fma_f16 v4, v27, 0xb9e0, -v4
	v_fmamk_f16 v27, v25, 0x3574, v11
	v_fma_f16 v30, v22, 0x3b00, -v11
	v_fma_f16 v31, v25, 0xb574, -v26
	v_add_f16_e32 v32, v10, v21
	v_add_f16_e32 v33, v8, v21
	;; [unrolled: 1-line block ×3, first 2 shown]
	s_waitcnt lgkmcnt(0)
	s_barrier
	buffer_gl0_inv
	ds_read_u16 v4, v0
	ds_read_u16 v10, v0 offset:3234
	ds_read_u16 v21, v0 offset:2772
	;; [unrolled: 1-line block ×7, first 2 shown]
	v_fmac_f16_e32 v27, 0x370e, v28
	v_fmac_f16_e32 v31, 0x370e, v28
	;; [unrolled: 1-line block ×3, first 2 shown]
	s_waitcnt lgkmcnt(0)
	s_barrier
	v_sub_f16_e32 v28, v32, v27
	v_sub_f16_e32 v35, v34, v31
	v_add_f16_e32 v36, v30, v33
	v_sub_f16_e32 v30, v33, v30
	v_add_f16_e32 v31, v31, v34
	v_add_f16_e32 v27, v27, v32
	buffer_gl0_inv
	ds_write_b16 v9, v29
	ds_write_b16 v9, v28 offset:66
	ds_write_b16 v9, v35 offset:132
	ds_write_b16 v9, v36 offset:198
	ds_write_b16 v9, v30 offset:264
	ds_write_b16 v9, v31 offset:330
	ds_write_b16 v9, v27 offset:396
	s_and_saveexec_b32 s1, s0
	s_cbranch_execz .LBB0_33
; %bb.32:
	v_add_f16_e32 v9, v16, v20
	v_add_f16_e32 v16, v17, v19
	;; [unrolled: 1-line block ×3, first 2 shown]
	v_sub_f16_e32 v5, v5, v14
	v_sub_f16_e32 v13, v13, v24
	;; [unrolled: 1-line block ×3, first 2 shown]
	v_add_f16_e32 v14, v16, v9
	v_sub_f16_e32 v17, v16, v9
	v_sub_f16_e32 v9, v9, v15
	;; [unrolled: 1-line block ×3, first 2 shown]
	v_add_f16_e32 v18, v13, v5
	v_add_f16_e32 v14, v15, v14
	v_sub_f16_e32 v15, v13, v5
	v_sub_f16_e32 v5, v5, v12
	;; [unrolled: 1-line block ×3, first 2 shown]
	v_add_f16_e32 v12, v18, v12
	v_add_f16_e32 v6, v6, v14
	v_mul_f16_e32 v9, 0x3a52, v9
	v_mul_f16_e32 v18, 0x2b26, v16
	;; [unrolled: 1-line block ×4, first 2 shown]
	v_fmamk_f16 v14, v14, 0xbcab, v6
	v_fmamk_f16 v16, v16, 0x2b26, v9
	v_fma_f16 v18, v17, 0x39e0, -v18
	v_fma_f16 v9, v17, 0xb9e0, -v9
	v_fmamk_f16 v17, v13, 0x3574, v15
	v_fma_f16 v13, v13, 0xb574, -v19
	v_fma_f16 v5, v5, 0x3b00, -v15
	v_add_f16_e32 v15, v16, v14
	v_add_f16_e32 v9, v9, v14
	v_fmac_f16_e32 v17, 0x370e, v12
	v_fmac_f16_e32 v13, 0x370e, v12
	v_add_f16_e32 v16, v18, v14
	v_fmac_f16_e32 v5, 0x370e, v12
	v_sub_f16_e32 v12, v15, v17
	v_sub_f16_e32 v14, v9, v13
	v_add_f16_e32 v9, v13, v9
	v_add_f16_e32 v18, v5, v16
	v_sub_f16_e32 v5, v16, v5
	v_add_f16_e32 v13, v17, v15
	ds_write_b16 v7, v6 offset:3234
	ds_write_b16 v7, v12 offset:3300
	;; [unrolled: 1-line block ×7, first 2 shown]
.LBB0_33:
	s_or_b32 exec_lo, exec_lo, s1
	v_mul_u32_u24_e32 v5, 3, v3
	s_waitcnt lgkmcnt(0)
	s_barrier
	buffer_gl0_inv
	v_lshlrev_b32_e32 v5, 2, v5
	global_load_dwordx3 v[5:7], v5, s[8:9] offset:912
	ds_read_u16 v9, v0 offset:924
	ds_read_u16 v12, v0 offset:1848
	;; [unrolled: 1-line block ×6, first 2 shown]
	ds_read_u16 v17, v0
	ds_read_u16 v18, v0 offset:462
	s_waitcnt vmcnt(0) lgkmcnt(0)
	s_barrier
	buffer_gl0_inv
	v_mul_f16_sdwa v19, v9, v5 dst_sel:DWORD dst_unused:UNUSED_PAD src0_sel:DWORD src1_sel:WORD_1
	v_mul_f16_sdwa v20, v26, v5 dst_sel:DWORD dst_unused:UNUSED_PAD src0_sel:DWORD src1_sel:WORD_1
	;; [unrolled: 1-line block ×12, first 2 shown]
	v_fma_f16 v19, v26, v5, -v19
	v_fmac_f16_e32 v20, v9, v5
	v_fma_f16 v9, v25, v6, -v23
	v_fmac_f16_e32 v24, v12, v6
	;; [unrolled: 2-line block ×6, first 2 shown]
	v_sub_f16_e32 v7, v4, v9
	v_sub_f16_e32 v13, v17, v24
	;; [unrolled: 1-line block ×8, first 2 shown]
	v_fma_f16 v4, v4, 2.0, -v7
	v_fma_f16 v12, v19, 2.0, -v9
	v_add_f16_e32 v19, v13, v9
	v_fma_f16 v8, v8, 2.0, -v5
	v_fma_f16 v9, v14, 2.0, -v6
	;; [unrolled: 1-line block ×4, first 2 shown]
	v_sub_f16_e32 v10, v7, v10
	v_fma_f16 v14, v30, 2.0, -v11
	v_sub_f16_e32 v11, v5, v11
	v_add_f16_e32 v20, v15, v6
	v_sub_f16_e32 v6, v4, v12
	v_sub_f16_e32 v9, v8, v9
	v_fma_f16 v7, v7, 2.0, -v10
	v_fma_f16 v5, v5, 2.0, -v11
	ds_write_b16 v0, v10 offset:1386
	ds_write_b16 v0, v11 offset:3234
	v_fma_f16 v4, v4, 2.0, -v6
	v_fma_f16 v8, v8, 2.0, -v9
	ds_write_b16 v0, v7 offset:462
	ds_write_b16 v0, v6 offset:924
	;; [unrolled: 1-line block ×4, first 2 shown]
	ds_write_b16 v0, v4
	ds_write_b16 v0, v8 offset:1848
	s_waitcnt lgkmcnt(0)
	s_barrier
	buffer_gl0_inv
	ds_read_u16 v5, v0
	ds_read_u16 v6, v0 offset:462
	ds_read_u16 v7, v0 offset:924
	;; [unrolled: 1-line block ×7, first 2 shown]
	v_fma_f16 v18, v18, 2.0, -v15
	v_sub_f16_e32 v17, v16, v17
	v_fma_f16 v13, v13, 2.0, -v19
	v_fma_f16 v15, v15, 2.0, -v20
	s_waitcnt lgkmcnt(0)
	v_sub_f16_e32 v14, v18, v14
	v_fma_f16 v4, v16, 2.0, -v17
	s_barrier
	buffer_gl0_inv
	v_fma_f16 v16, v18, 2.0, -v14
	ds_write_b16 v0, v4
	ds_write_b16 v0, v13 offset:462
	ds_write_b16 v0, v17 offset:924
	;; [unrolled: 1-line block ×7, first 2 shown]
	s_waitcnt lgkmcnt(0)
	s_barrier
	buffer_gl0_inv
	s_and_saveexec_b32 s0, vcc_lo
	s_cbranch_execz .LBB0_35
; %bb.34:
	v_add_nc_u32_e32 v13, 0x2b5, v3
	v_mov_b32_e32 v14, 0
	v_lshlrev_b64 v[15:16], 2, v[13:14]
	v_mov_b32_e32 v4, v14
	v_add_co_u32 v17, vcc_lo, s8, v15
	v_add_co_ci_u32_e32 v18, vcc_lo, s9, v16, vcc_lo
	v_lshlrev_b64 v[15:16], 2, v[3:4]
	v_add_co_u32 v17, vcc_lo, 0x800, v17
	v_add_co_ci_u32_e32 v18, vcc_lo, 0, v18, vcc_lo
	v_add_nc_u32_e32 v3, 0x1ce, v3
	v_add_co_u32 v4, vcc_lo, s8, v15
	v_add_co_ci_u32_e32 v20, vcc_lo, s9, v16, vcc_lo
	global_load_dword v23, v[17:18], off offset:1636
	v_add_co_u32 v17, vcc_lo, 0x1000, v4
	v_add_co_ci_u32_e32 v18, vcc_lo, 0, v20, vcc_lo
	v_add_co_u32 v19, vcc_lo, 0x800, v4
	v_add_co_ci_u32_e32 v20, vcc_lo, 0, v20, vcc_lo
	s_clause 0x2
	global_load_dword v4, v[17:18], off offset:1436
	global_load_dword v24, v[19:20], off offset:1636
	;; [unrolled: 1-line block ×3, first 2 shown]
	ds_read_u16 v26, v0 offset:3234
	ds_read_u16 v27, v0 offset:2772
	;; [unrolled: 1-line block ×4, first 2 shown]
	v_lshrrev_b32_e32 v3, 2, v3
	v_lshrrev_b32_e32 v17, 2, v13
	ds_read_u16 v30, v0 offset:1386
	ds_read_u16 v31, v0 offset:924
	;; [unrolled: 1-line block ×3, first 2 shown]
	ds_read_u16 v33, v0
	v_add_co_u32 v19, vcc_lo, s2, v1
	v_mul_hi_u32 v3, 0x23769481, v3
	v_mul_hi_u32 v0, 0x23769481, v17
	v_add_co_ci_u32_e32 v20, vcc_lo, s3, v2, vcc_lo
	v_mov_b32_e32 v1, v14
	v_add_co_u32 v2, vcc_lo, v19, v15
	v_lshrrev_b32_e32 v17, 5, v3
	v_lshrrev_b32_e32 v18, 5, v0
	v_add_co_ci_u32_e32 v3, vcc_lo, v20, v16, vcc_lo
	v_add_co_u32 v15, vcc_lo, 0x800, v2
	v_mul_u32_u24_e32 v0, 0x39c, v17
	v_mad_u32_u24 v13, 0x39c, v18, v13
	v_add_co_ci_u32_e32 v16, vcc_lo, 0, v3, vcc_lo
	v_add_co_u32 v17, vcc_lo, 0x1000, v2
	v_lshlrev_b64 v[0:1], 2, v[0:1]
	v_lshlrev_b64 v[13:14], 2, v[13:14]
	v_add_co_ci_u32_e32 v18, vcc_lo, 0, v3, vcc_lo
	v_add_co_u32 v0, vcc_lo, v2, v0
	v_add_co_ci_u32_e32 v1, vcc_lo, v3, v1, vcc_lo
	v_add_co_u32 v13, vcc_lo, v19, v13
	;; [unrolled: 2-line block ×4, first 2 shown]
	v_add_co_ci_u32_e32 v22, vcc_lo, 0, v14, vcc_lo
	s_waitcnt vmcnt(3) lgkmcnt(7)
	v_mul_f16_sdwa v34, v26, v23 dst_sel:DWORD dst_unused:UNUSED_PAD src0_sel:DWORD src1_sel:WORD_1
	v_mul_f16_sdwa v35, v12, v23 dst_sel:DWORD dst_unused:UNUSED_PAD src0_sel:DWORD src1_sel:WORD_1
	v_fma_f16 v12, v12, v23, -v34
	v_fmac_f16_e32 v35, v23, v26
	s_waitcnt vmcnt(2) lgkmcnt(6)
	v_mul_f16_sdwa v23, v27, v4 dst_sel:DWORD dst_unused:UNUSED_PAD src0_sel:DWORD src1_sel:WORD_1
	v_mul_f16_sdwa v26, v11, v4 dst_sel:DWORD dst_unused:UNUSED_PAD src0_sel:DWORD src1_sel:WORD_1
	s_waitcnt vmcnt(0) lgkmcnt(5)
	v_mul_f16_sdwa v34, v28, v25 dst_sel:DWORD dst_unused:UNUSED_PAD src0_sel:DWORD src1_sel:WORD_1
	s_waitcnt lgkmcnt(4)
	v_mul_f16_sdwa v37, v29, v24 dst_sel:DWORD dst_unused:UNUSED_PAD src0_sel:DWORD src1_sel:WORD_1
	v_mul_f16_sdwa v38, v10, v24 dst_sel:DWORD dst_unused:UNUSED_PAD src0_sel:DWORD src1_sel:WORD_1
	;; [unrolled: 1-line block ×3, first 2 shown]
	v_fma_f16 v11, v11, v4, -v23
	v_fmac_f16_e32 v26, v4, v27
	v_fma_f16 v4, v8, v25, -v34
	v_fma_f16 v8, v10, v24, -v37
	v_fmac_f16_e32 v38, v24, v29
	v_fmac_f16_e32 v36, v25, v28
	v_sub_f16_e32 v11, v7, v11
	v_sub_f16_e32 v4, v6, v4
	;; [unrolled: 1-line block ×3, first 2 shown]
	s_waitcnt lgkmcnt(0)
	v_sub_f16_e32 v25, v33, v38
	v_sub_f16_e32 v24, v32, v36
	;; [unrolled: 1-line block ×5, first 2 shown]
	v_fma_f16 v5, v5, 2.0, -v8
	v_fma_f16 v28, v33, 2.0, -v25
	;; [unrolled: 1-line block ×8, first 2 shown]
	v_pack_b32_f16 v8, v8, v25
	v_pack_b32_f16 v4, v4, v24
	;; [unrolled: 1-line block ×8, first 2 shown]
	global_store_dword v[15:16], v8, off offset:1648
	global_store_dword v[17:18], v4, off offset:524
	;; [unrolled: 1-line block ×3, first 2 shown]
	global_store_dword v[2:3], v5, off
	global_store_dword v[2:3], v6, off offset:924
	global_store_dword v[0:1], v7, off offset:1848
	global_store_dword v[13:14], v9, off
	global_store_dword v[21:22], v12, off offset:1648
.LBB0_35:
	s_endpgm
	.section	.rodata,"a",@progbits
	.p2align	6, 0x0
	.amdhsa_kernel fft_rtc_fwd_len1848_factors_3_11_7_4_2_wgs_231_tpt_231_halfLds_half_ip_CI_unitstride_sbrr_dirReg
		.amdhsa_group_segment_fixed_size 0
		.amdhsa_private_segment_fixed_size 0
		.amdhsa_kernarg_size 88
		.amdhsa_user_sgpr_count 6
		.amdhsa_user_sgpr_private_segment_buffer 1
		.amdhsa_user_sgpr_dispatch_ptr 0
		.amdhsa_user_sgpr_queue_ptr 0
		.amdhsa_user_sgpr_kernarg_segment_ptr 1
		.amdhsa_user_sgpr_dispatch_id 0
		.amdhsa_user_sgpr_flat_scratch_init 0
		.amdhsa_user_sgpr_private_segment_size 0
		.amdhsa_wavefront_size32 1
		.amdhsa_uses_dynamic_stack 0
		.amdhsa_system_sgpr_private_segment_wavefront_offset 0
		.amdhsa_system_sgpr_workgroup_id_x 1
		.amdhsa_system_sgpr_workgroup_id_y 0
		.amdhsa_system_sgpr_workgroup_id_z 0
		.amdhsa_system_sgpr_workgroup_info 0
		.amdhsa_system_vgpr_workitem_id 0
		.amdhsa_next_free_vgpr 65
		.amdhsa_next_free_sgpr 21
		.amdhsa_reserve_vcc 1
		.amdhsa_reserve_flat_scratch 0
		.amdhsa_float_round_mode_32 0
		.amdhsa_float_round_mode_16_64 0
		.amdhsa_float_denorm_mode_32 3
		.amdhsa_float_denorm_mode_16_64 3
		.amdhsa_dx10_clamp 1
		.amdhsa_ieee_mode 1
		.amdhsa_fp16_overflow 0
		.amdhsa_workgroup_processor_mode 1
		.amdhsa_memory_ordered 1
		.amdhsa_forward_progress 0
		.amdhsa_shared_vgpr_count 0
		.amdhsa_exception_fp_ieee_invalid_op 0
		.amdhsa_exception_fp_denorm_src 0
		.amdhsa_exception_fp_ieee_div_zero 0
		.amdhsa_exception_fp_ieee_overflow 0
		.amdhsa_exception_fp_ieee_underflow 0
		.amdhsa_exception_fp_ieee_inexact 0
		.amdhsa_exception_int_div_zero 0
	.end_amdhsa_kernel
	.text
.Lfunc_end0:
	.size	fft_rtc_fwd_len1848_factors_3_11_7_4_2_wgs_231_tpt_231_halfLds_half_ip_CI_unitstride_sbrr_dirReg, .Lfunc_end0-fft_rtc_fwd_len1848_factors_3_11_7_4_2_wgs_231_tpt_231_halfLds_half_ip_CI_unitstride_sbrr_dirReg
                                        ; -- End function
	.section	.AMDGPU.csdata,"",@progbits
; Kernel info:
; codeLenInByte = 8200
; NumSgprs: 23
; NumVgprs: 65
; ScratchSize: 0
; MemoryBound: 0
; FloatMode: 240
; IeeeMode: 1
; LDSByteSize: 0 bytes/workgroup (compile time only)
; SGPRBlocks: 2
; VGPRBlocks: 8
; NumSGPRsForWavesPerEU: 23
; NumVGPRsForWavesPerEU: 65
; Occupancy: 12
; WaveLimiterHint : 1
; COMPUTE_PGM_RSRC2:SCRATCH_EN: 0
; COMPUTE_PGM_RSRC2:USER_SGPR: 6
; COMPUTE_PGM_RSRC2:TRAP_HANDLER: 0
; COMPUTE_PGM_RSRC2:TGID_X_EN: 1
; COMPUTE_PGM_RSRC2:TGID_Y_EN: 0
; COMPUTE_PGM_RSRC2:TGID_Z_EN: 0
; COMPUTE_PGM_RSRC2:TIDIG_COMP_CNT: 0
	.text
	.p2alignl 6, 3214868480
	.fill 48, 4, 3214868480
	.type	__hip_cuid_57929841e23830b7,@object ; @__hip_cuid_57929841e23830b7
	.section	.bss,"aw",@nobits
	.globl	__hip_cuid_57929841e23830b7
__hip_cuid_57929841e23830b7:
	.byte	0                               ; 0x0
	.size	__hip_cuid_57929841e23830b7, 1

	.ident	"AMD clang version 19.0.0git (https://github.com/RadeonOpenCompute/llvm-project roc-6.4.0 25133 c7fe45cf4b819c5991fe208aaa96edf142730f1d)"
	.section	".note.GNU-stack","",@progbits
	.addrsig
	.addrsig_sym __hip_cuid_57929841e23830b7
	.amdgpu_metadata
---
amdhsa.kernels:
  - .args:
      - .actual_access:  read_only
        .address_space:  global
        .offset:         0
        .size:           8
        .value_kind:     global_buffer
      - .offset:         8
        .size:           8
        .value_kind:     by_value
      - .actual_access:  read_only
        .address_space:  global
        .offset:         16
        .size:           8
        .value_kind:     global_buffer
      - .actual_access:  read_only
        .address_space:  global
        .offset:         24
        .size:           8
        .value_kind:     global_buffer
      - .offset:         32
        .size:           8
        .value_kind:     by_value
      - .actual_access:  read_only
        .address_space:  global
        .offset:         40
        .size:           8
        .value_kind:     global_buffer
      - .actual_access:  read_only
        .address_space:  global
        .offset:         48
        .size:           8
        .value_kind:     global_buffer
      - .offset:         56
        .size:           4
        .value_kind:     by_value
      - .actual_access:  read_only
        .address_space:  global
        .offset:         64
        .size:           8
        .value_kind:     global_buffer
      - .actual_access:  read_only
        .address_space:  global
        .offset:         72
        .size:           8
        .value_kind:     global_buffer
      - .address_space:  global
        .offset:         80
        .size:           8
        .value_kind:     global_buffer
    .group_segment_fixed_size: 0
    .kernarg_segment_align: 8
    .kernarg_segment_size: 88
    .language:       OpenCL C
    .language_version:
      - 2
      - 0
    .max_flat_workgroup_size: 231
    .name:           fft_rtc_fwd_len1848_factors_3_11_7_4_2_wgs_231_tpt_231_halfLds_half_ip_CI_unitstride_sbrr_dirReg
    .private_segment_fixed_size: 0
    .sgpr_count:     23
    .sgpr_spill_count: 0
    .symbol:         fft_rtc_fwd_len1848_factors_3_11_7_4_2_wgs_231_tpt_231_halfLds_half_ip_CI_unitstride_sbrr_dirReg.kd
    .uniform_work_group_size: 1
    .uses_dynamic_stack: false
    .vgpr_count:     65
    .vgpr_spill_count: 0
    .wavefront_size: 32
    .workgroup_processor_mode: 1
amdhsa.target:   amdgcn-amd-amdhsa--gfx1030
amdhsa.version:
  - 1
  - 2
...

	.end_amdgpu_metadata
